;; amdgpu-corpus repo=ROCm/rocFFT kind=compiled arch=gfx906 opt=O3
	.text
	.amdgcn_target "amdgcn-amd-amdhsa--gfx906"
	.amdhsa_code_object_version 6
	.protected	fft_rtc_fwd_len336_factors_3_7_8_2_wgs_168_tpt_42_dim2_dp_ip_CI_sbcc_twdbase8_2step_dirReg ; -- Begin function fft_rtc_fwd_len336_factors_3_7_8_2_wgs_168_tpt_42_dim2_dp_ip_CI_sbcc_twdbase8_2step_dirReg
	.globl	fft_rtc_fwd_len336_factors_3_7_8_2_wgs_168_tpt_42_dim2_dp_ip_CI_sbcc_twdbase8_2step_dirReg
	.p2align	8
	.type	fft_rtc_fwd_len336_factors_3_7_8_2_wgs_168_tpt_42_dim2_dp_ip_CI_sbcc_twdbase8_2step_dirReg,@function
fft_rtc_fwd_len336_factors_3_7_8_2_wgs_168_tpt_42_dim2_dp_ip_CI_sbcc_twdbase8_2step_dirReg: ; @fft_rtc_fwd_len336_factors_3_7_8_2_wgs_168_tpt_42_dim2_dp_ip_CI_sbcc_twdbase8_2step_dirReg
; %bb.0:
	s_load_dwordx4 s[0:3], s[4:5], 0x10
	s_mov_b32 s7, 0
	s_mov_b64 s[18:19], -1
	s_mov_b64 s[20:21], 0
	s_waitcnt lgkmcnt(0)
	s_load_dwordx2 s[16:17], s[0:1], 0x8
	s_load_dwordx2 s[14:15], s[4:5], 0x50
	;; [unrolled: 1-line block ×3, first 2 shown]
	s_waitcnt lgkmcnt(0)
	s_add_u32 s0, s16, -1
	s_addc_u32 s1, s17, -1
	s_lshr_b64 s[0:1], s[0:1], 2
	s_add_u32 s0, s0, 1
	s_addc_u32 s1, s1, 0
	v_mov_b32_e32 v2, s1
	v_mov_b32_e32 v1, s0
	v_cmp_lt_u64_e32 vcc, s[6:7], v[1:2]
	s_cbranch_vccnz .LBB0_2
; %bb.1:
	v_cvt_f32_u32_e32 v1, s0
	s_sub_i32 s7, 0, s0
	v_rcp_iflag_f32_e32 v1, v1
	v_mul_f32_e32 v1, 0x4f7ffffe, v1
	v_cvt_u32_f32_e32 v1, v1
	v_readfirstlane_b32 s8, v1
	s_mul_i32 s7, s7, s8
	s_mul_hi_u32 s7, s8, s7
	s_add_i32 s8, s8, s7
	s_mul_hi_u32 s7, s6, s8
	s_mul_i32 s9, s7, s0
	s_sub_i32 s9, s6, s9
	s_add_i32 s8, s7, 1
	s_sub_i32 s10, s9, s0
	s_cmp_ge_u32 s9, s0
	s_cselect_b32 s7, s8, s7
	s_cselect_b32 s9, s10, s9
	s_add_i32 s8, s7, 1
	s_cmp_ge_u32 s9, s0
	s_cselect_b32 s20, s8, s7
.LBB0_2:
	s_mul_i32 s1, s20, s1
	s_mul_hi_u32 s7, s20, s0
	s_load_dwordx4 s[8:11], s[2:3], 0x8
	s_add_i32 s7, s7, s1
	s_mul_i32 s0, s20, s0
	s_sub_u32 s0, s6, s0
	s_subb_u32 s1, 0, s7
	v_mov_b32_e32 v1, s0
	s_lshl_b64 s[6:7], s[0:1], 2
	v_alignbit_b32 v1, s1, v1, 30
	v_readfirstlane_b32 s0, v1
	s_waitcnt lgkmcnt(0)
	s_mul_i32 s1, s6, s9
	s_mul_hi_u32 s2, s6, s8
	s_mul_i32 s0, s0, s8
	s_add_i32 s1, s2, s1
	s_mul_i32 s2, s11, s20
	s_mul_hi_u32 s3, s10, s20
	s_add_i32 s1, s1, s0
	s_mul_i32 s0, s6, s8
	s_add_i32 s3, s3, s2
	s_mul_i32 s2, s10, s20
	s_add_u32 s2, s2, s0
	s_addc_u32 s3, s3, s1
	v_and_b32_e32 v59, 3, v0
	v_or_b32_e32 v57, s6, v59
	s_add_u32 s6, s6, 4
	v_mov_b32_e32 v1, s16
	v_mov_b32_e32 v58, s7
	s_addc_u32 s7, s7, 0
	v_mov_b32_e32 v2, s17
	v_cmp_gt_u64_e32 vcc, s[6:7], v[1:2]
	v_cmp_le_u64_e64 s[0:1], s[6:7], v[1:2]
	v_lshrrev_b32_e32 v61, 2, v0
	s_cbranch_vccz .LBB0_10
; %bb.3:
	v_cmp_le_u64_e32 vcc, s[16:17], v[57:58]
                                        ; implicit-def: $vgpr60
	s_and_saveexec_b64 s[6:7], vcc
	s_xor_b64 s[6:7], exec, s[6:7]
; %bb.4:
	v_add_u32_e32 v60, 42, v61
; %bb.5:
	s_or_saveexec_b64 s[6:7], s[6:7]
                                        ; implicit-def: $vgpr1_vgpr2
                                        ; implicit-def: $vgpr13_vgpr14
                                        ; implicit-def: $vgpr17_vgpr18
                                        ; implicit-def: $vgpr25_vgpr26
                                        ; implicit-def: $vgpr33_vgpr34
                                        ; implicit-def: $vgpr29_vgpr30
                                        ; implicit-def: $vgpr21_vgpr22
                                        ; implicit-def: $vgpr9_vgpr10
                                        ; implicit-def: $vgpr5_vgpr6
	s_xor_b64 exec, exec, s[6:7]
	s_cbranch_execz .LBB0_9
; %bb.6:
	v_mad_u64_u32 v[1:2], s[10:11], s8, v59, 0
	v_mad_u64_u32 v[3:4], s[10:11], s12, v61, 0
	v_add_u32_e32 v8, 0x70, v61
	v_add_u32_e32 v60, 42, v61
	v_mad_u64_u32 v[5:6], s[10:11], s9, v59, v[2:3]
	v_mov_b32_e32 v2, v4
	v_mad_u64_u32 v[6:7], s[10:11], s13, v61, v[2:3]
	s_lshl_b64 s[10:11], s[2:3], 4
	s_add_u32 s18, s14, s10
	s_addc_u32 s10, s15, s11
	v_mov_b32_e32 v2, v5
	v_mov_b32_e32 v4, v6
	;; [unrolled: 1-line block ×3, first 2 shown]
	v_mad_u64_u32 v[5:6], s[10:11], s12, v8, 0
	v_lshlrev_b64 v[1:2], 4, v[1:2]
	v_add_u32_e32 v27, 0x10a, v61
	v_add_co_u32_e32 v35, vcc, s18, v1
	v_addc_co_u32_e32 v36, vcc, v7, v2, vcc
	v_lshlrev_b64 v[1:2], 4, v[3:4]
	v_mov_b32_e32 v3, v6
	v_mad_u64_u32 v[3:4], s[10:11], s13, v8, v[3:4]
	v_add_co_u32_e32 v9, vcc, v35, v1
	v_mov_b32_e32 v6, v3
	v_add_u32_e32 v3, 0xe0, v61
	v_mad_u64_u32 v[11:12], s[10:11], s12, v3, 0
	v_addc_co_u32_e32 v10, vcc, v36, v2, vcc
	v_lshlrev_b64 v[1:2], 4, v[5:6]
                                        ; implicit-def: $vgpr33_vgpr34
                                        ; implicit-def: $vgpr29_vgpr30
	v_add_co_u32_e32 v13, vcc, v35, v1
	v_mov_b32_e32 v1, v12
	v_mad_u64_u32 v[15:16], s[10:11], s13, v3, v[1:2]
	v_mad_u64_u32 v[16:17], s[10:11], s12, v60, 0
	v_mov_b32_e32 v12, v15
	v_addc_co_u32_e32 v14, vcc, v36, v2, vcc
	global_load_dwordx4 v[1:4], v[9:10], off
	global_load_dwordx4 v[5:8], v[13:14], off
	v_lshlrev_b64 v[9:10], 4, v[11:12]
	v_mov_b32_e32 v11, v17
	v_mad_u64_u32 v[11:12], s[10:11], s13, v60, v[11:12]
	v_add_co_u32_e32 v18, vcc, v35, v9
	v_mov_b32_e32 v17, v11
	v_add_u32_e32 v11, 0x9a, v61
	v_mad_u64_u32 v[20:21], s[10:11], s12, v11, 0
	v_addc_co_u32_e32 v19, vcc, v36, v10, vcc
	v_lshlrev_b64 v[9:10], 4, v[16:17]
	v_add_co_u32_e32 v22, vcc, v35, v9
	v_mov_b32_e32 v9, v21
	v_mad_u64_u32 v[24:25], s[10:11], s13, v11, v[9:10]
	v_mad_u64_u32 v[25:26], s[10:11], s12, v27, 0
	v_addc_co_u32_e32 v23, vcc, v36, v10, vcc
	global_load_dwordx4 v[13:16], v[18:19], off
	global_load_dwordx4 v[9:12], v[22:23], off
	v_mov_b32_e32 v21, v24
	v_mov_b32_e32 v19, v26
	v_lshlrev_b64 v[17:18], 4, v[20:21]
	v_mad_u64_u32 v[19:20], s[10:11], s13, v27, v[19:20]
	v_add_co_u32_e32 v27, vcc, v35, v17
	v_mov_b32_e32 v26, v19
	v_addc_co_u32_e32 v28, vcc, v36, v18, vcc
	v_lshlrev_b64 v[17:18], 4, v[25:26]
	s_movk_i32 s10, 0x70
	v_add_co_u32_e32 v25, vcc, v35, v17
	v_addc_co_u32_e32 v26, vcc, v36, v18, vcc
	global_load_dwordx4 v[21:24], v[27:28], off
	global_load_dwordx4 v[17:20], v[25:26], off
	v_cmp_gt_u32_e32 vcc, s10, v0
                                        ; implicit-def: $vgpr25_vgpr26
	s_and_saveexec_b64 s[10:11], vcc
	s_cbranch_execz .LBB0_8
; %bb.7:
	v_add_u32_e32 v29, 0x54, v61
	v_add_u32_e32 v31, 0xc4, v61
	v_mad_u64_u32 v[25:26], s[18:19], s12, v29, 0
	v_mad_u64_u32 v[27:28], s[18:19], s12, v31, 0
	;; [unrolled: 1-line block ×3, first 2 shown]
	v_mov_b32_e32 v26, v29
	v_mad_u64_u32 v[28:29], s[18:19], s13, v31, v[28:29]
	v_add_u32_e32 v29, 0x134, v61
	v_mad_u64_u32 v[33:34], s[18:19], s12, v29, 0
	v_lshlrev_b64 v[25:26], 4, v[25:26]
	v_add_co_u32_e32 v37, vcc, v35, v25
	v_addc_co_u32_e32 v38, vcc, v36, v26, vcc
	v_lshlrev_b64 v[25:26], 4, v[27:28]
	v_mov_b32_e32 v27, v34
	v_mad_u64_u32 v[39:40], s[18:19], s13, v29, v[27:28]
	v_add_co_u32_e32 v40, vcc, v35, v25
	v_mov_b32_e32 v34, v39
	v_lshlrev_b64 v[33:34], 4, v[33:34]
	v_addc_co_u32_e32 v41, vcc, v36, v26, vcc
	v_add_co_u32_e32 v33, vcc, v35, v33
	v_addc_co_u32_e32 v34, vcc, v36, v34, vcc
	global_load_dwordx4 v[29:32], v[37:38], off
	global_load_dwordx4 v[25:28], v[40:41], off
	s_nop 0
	global_load_dwordx4 v[33:36], v[33:34], off
.LBB0_8:
	s_or_b64 exec, exec, s[10:11]
.LBB0_9:
	s_or_b64 exec, exec, s[6:7]
	s_cbranch_execz .LBB0_11
	s_branch .LBB0_14
.LBB0_10:
                                        ; implicit-def: $vgpr1_vgpr2
                                        ; implicit-def: $vgpr13_vgpr14
                                        ; implicit-def: $vgpr17_vgpr18
                                        ; implicit-def: $vgpr25_vgpr26
                                        ; implicit-def: $vgpr33_vgpr34
                                        ; implicit-def: $vgpr60
                                        ; implicit-def: $vgpr29_vgpr30
                                        ; implicit-def: $vgpr21_vgpr22
                                        ; implicit-def: $vgpr9_vgpr10
                                        ; implicit-def: $vgpr5_vgpr6
	s_andn2_b64 vcc, exec, s[18:19]
	s_cbranch_vccnz .LBB0_14
.LBB0_11:
	s_waitcnt vmcnt(5)
	v_mad_u64_u32 v[1:2], s[6:7], s8, v59, 0
	v_mad_u64_u32 v[3:4], s[6:7], s12, v61, 0
	s_waitcnt vmcnt(4)
	v_add_u32_e32 v8, 0x70, v61
	v_add_u32_e32 v60, 42, v61
	v_mad_u64_u32 v[5:6], s[6:7], s9, v59, v[2:3]
	v_mov_b32_e32 v2, v4
	v_mad_u64_u32 v[6:7], s[6:7], s13, v61, v[2:3]
	s_lshl_b64 s[6:7], s[2:3], 4
	s_add_u32 s10, s14, s6
	s_addc_u32 s6, s15, s7
	v_mov_b32_e32 v2, v5
	v_mov_b32_e32 v4, v6
	;; [unrolled: 1-line block ×3, first 2 shown]
	v_mad_u64_u32 v[5:6], s[6:7], s12, v8, 0
	v_lshlrev_b64 v[1:2], 4, v[1:2]
	s_waitcnt vmcnt(1)
	v_add_u32_e32 v27, 0x10a, v61
	s_waitcnt vmcnt(0)
	v_add_co_u32_e32 v35, vcc, s10, v1
	v_addc_co_u32_e32 v36, vcc, v7, v2, vcc
	v_lshlrev_b64 v[1:2], 4, v[3:4]
	v_mov_b32_e32 v3, v6
	v_mad_u64_u32 v[3:4], s[6:7], s13, v8, v[3:4]
	v_add_co_u32_e32 v9, vcc, v35, v1
	v_mov_b32_e32 v6, v3
	v_add_u32_e32 v3, 0xe0, v61
	v_mad_u64_u32 v[11:12], s[6:7], s12, v3, 0
	v_addc_co_u32_e32 v10, vcc, v36, v2, vcc
	v_lshlrev_b64 v[1:2], 4, v[5:6]
                                        ; implicit-def: $vgpr33_vgpr34
                                        ; implicit-def: $vgpr29_vgpr30
	v_add_co_u32_e32 v13, vcc, v35, v1
	v_mov_b32_e32 v1, v12
	v_mad_u64_u32 v[15:16], s[6:7], s13, v3, v[1:2]
	v_mad_u64_u32 v[16:17], s[6:7], s12, v60, 0
	v_mov_b32_e32 v12, v15
	v_addc_co_u32_e32 v14, vcc, v36, v2, vcc
	global_load_dwordx4 v[1:4], v[9:10], off
	global_load_dwordx4 v[5:8], v[13:14], off
	v_lshlrev_b64 v[9:10], 4, v[11:12]
	v_mov_b32_e32 v11, v17
	v_mad_u64_u32 v[11:12], s[6:7], s13, v60, v[11:12]
	v_add_co_u32_e32 v18, vcc, v35, v9
	v_mov_b32_e32 v17, v11
	v_add_u32_e32 v11, 0x9a, v61
	v_mad_u64_u32 v[20:21], s[6:7], s12, v11, 0
	v_addc_co_u32_e32 v19, vcc, v36, v10, vcc
	v_lshlrev_b64 v[9:10], 4, v[16:17]
	v_add_co_u32_e32 v22, vcc, v35, v9
	v_mov_b32_e32 v9, v21
	v_mad_u64_u32 v[24:25], s[6:7], s13, v11, v[9:10]
	v_mad_u64_u32 v[25:26], s[6:7], s12, v27, 0
	v_addc_co_u32_e32 v23, vcc, v36, v10, vcc
	global_load_dwordx4 v[13:16], v[18:19], off
	global_load_dwordx4 v[9:12], v[22:23], off
	v_mov_b32_e32 v21, v24
	v_mov_b32_e32 v19, v26
	v_lshlrev_b64 v[17:18], 4, v[20:21]
	v_mad_u64_u32 v[19:20], s[6:7], s13, v27, v[19:20]
	v_add_co_u32_e32 v27, vcc, v35, v17
	v_mov_b32_e32 v26, v19
	v_addc_co_u32_e32 v28, vcc, v36, v18, vcc
	v_lshlrev_b64 v[17:18], 4, v[25:26]
	s_movk_i32 s6, 0x70
	v_add_co_u32_e32 v25, vcc, v35, v17
	v_addc_co_u32_e32 v26, vcc, v36, v18, vcc
	global_load_dwordx4 v[21:24], v[27:28], off
	global_load_dwordx4 v[17:20], v[25:26], off
	v_cmp_gt_u32_e32 vcc, s6, v0
                                        ; implicit-def: $vgpr25_vgpr26
	s_and_saveexec_b64 s[6:7], vcc
	s_cbranch_execz .LBB0_13
; %bb.12:
	v_add_u32_e32 v29, 0x54, v61
	v_add_u32_e32 v31, 0xc4, v61
	v_mad_u64_u32 v[25:26], s[10:11], s12, v29, 0
	v_mad_u64_u32 v[27:28], s[10:11], s12, v31, 0
	;; [unrolled: 1-line block ×3, first 2 shown]
	v_mov_b32_e32 v26, v29
	v_mad_u64_u32 v[28:29], s[10:11], s13, v31, v[28:29]
	v_add_u32_e32 v29, 0x134, v61
	v_mad_u64_u32 v[33:34], s[10:11], s12, v29, 0
	v_lshlrev_b64 v[25:26], 4, v[25:26]
	v_add_co_u32_e32 v37, vcc, v35, v25
	v_addc_co_u32_e32 v38, vcc, v36, v26, vcc
	v_lshlrev_b64 v[25:26], 4, v[27:28]
	v_mov_b32_e32 v27, v34
	v_mad_u64_u32 v[39:40], s[10:11], s13, v29, v[27:28]
	v_add_co_u32_e32 v40, vcc, v35, v25
	v_mov_b32_e32 v34, v39
	v_lshlrev_b64 v[33:34], 4, v[33:34]
	v_addc_co_u32_e32 v41, vcc, v36, v26, vcc
	v_add_co_u32_e32 v33, vcc, v35, v33
	v_addc_co_u32_e32 v34, vcc, v36, v34, vcc
	global_load_dwordx4 v[29:32], v[37:38], off
	global_load_dwordx4 v[25:28], v[40:41], off
	s_nop 0
	global_load_dwordx4 v[33:36], v[33:34], off
.LBB0_13:
	s_or_b64 exec, exec, s[6:7]
.LBB0_14:
	s_waitcnt vmcnt(4)
	v_add_f64 v[37:38], v[5:6], v[1:2]
	s_waitcnt vmcnt(1)
	v_add_f64 v[41:42], v[9:10], v[21:22]
	v_add_f64 v[39:40], v[7:8], v[3:4]
	;; [unrolled: 1-line block ×4, first 2 shown]
	v_add_f64 v[47:48], v[7:8], -v[15:16]
	v_add_f64 v[7:8], v[7:8], v[15:16]
	v_add_f64 v[5:6], v[5:6], -v[13:14]
	v_add_f64 v[13:14], v[13:14], v[37:38]
	s_waitcnt vmcnt(0)
	v_add_f64 v[37:38], v[41:42], v[17:18]
	v_add_f64 v[41:42], v[21:22], v[17:18]
	;; [unrolled: 1-line block ×4, first 2 shown]
	v_add_f64 v[43:44], v[23:24], -v[19:20]
	v_add_f64 v[19:20], v[23:24], v[19:20]
	v_fma_f64 v[3:4], v[7:8], -0.5, v[3:4]
	v_add_f64 v[23:24], v[35:36], v[27:28]
	v_fma_f64 v[1:2], v[45:46], -0.5, v[1:2]
	v_fma_f64 v[7:8], v[41:42], -0.5, v[9:10]
	v_add_f64 v[9:10], v[33:34], v[25:26]
	v_add_f64 v[51:52], v[27:28], -v[35:36]
	v_add_f64 v[55:56], v[25:26], -v[33:34]
	;; [unrolled: 1-line block ×3, first 2 shown]
	v_fma_f64 v[11:12], v[19:20], -0.5, v[11:12]
	v_fma_f64 v[53:54], v[23:24], -0.5, v[31:32]
	s_mov_b32 s6, 0xe8584caa
	s_mov_b32 s7, 0x3febb67a
	v_fma_f64 v[9:10], v[9:10], -0.5, v[29:30]
	s_mov_b32 s11, 0xbfebb67a
	s_mov_b32 s10, s6
	v_fma_f64 v[17:18], v[47:48], s[6:7], v[1:2]
	v_fma_f64 v[21:22], v[47:48], s[10:11], v[1:2]
	;; [unrolled: 1-line block ×12, first 2 shown]
	s_movk_i32 s6, 0xc0
	v_mul_lo_u32 v11, v60, s6
	v_mad_u32_u24 v10, v61, s6, 0
	s_load_dwordx2 s[6:7], s[4:5], 0x0
	v_lshlrev_b32_e32 v63, 4, v59
	v_add_u32_e32 v9, v10, v63
	ds_write_b128 v9, v[13:16]
	ds_write_b128 v9, v[17:20] offset:64
	ds_write_b128 v9, v[21:24] offset:128
	v_add_u32_e32 v9, 0, v11
	s_movk_i32 s10, 0x70
	v_add_u32_e32 v11, v9, v63
	v_cmp_gt_u32_e32 vcc, s10, v0
	ds_write_b128 v11, v[37:40]
	ds_write_b128 v11, v[41:44] offset:64
	ds_write_b128 v11, v[45:48] offset:128
	s_and_saveexec_b64 s[10:11], vcc
	s_cbranch_execz .LBB0_16
; %bb.15:
	v_add_f64 v[11:12], v[31:32], v[27:28]
	v_add_f64 v[15:16], v[29:30], v[25:26]
	;; [unrolled: 1-line block ×4, first 2 shown]
	v_lshl_add_u32 v15, v59, 4, v10
	ds_write_b128 v15, v[1:4] offset:16192
	ds_write_b128 v15, v[11:14] offset:16128
	;; [unrolled: 1-line block ×3, first 2 shown]
.LBB0_16:
	s_or_b64 exec, exec, s[10:11]
	v_lshlrev_b32_e32 v11, 7, v61
	v_sub_u32_e32 v10, v10, v11
	v_lshl_add_u32 v62, v59, 4, v10
	s_waitcnt lgkmcnt(0)
	s_barrier
	ds_read_b128 v[29:32], v62
	ds_read_b128 v[49:52], v62 offset:3072
	ds_read_b128 v[45:48], v62 offset:6144
	;; [unrolled: 1-line block ×6, first 2 shown]
	v_cmp_gt_u32_e32 vcc, 24, v0
                                        ; implicit-def: $vgpr27_vgpr28
                                        ; implicit-def: $vgpr23_vgpr24
                                        ; implicit-def: $vgpr19_vgpr20
                                        ; implicit-def: $vgpr15_vgpr16
                                        ; implicit-def: $vgpr11_vgpr12
	s_and_saveexec_b64 s[10:11], vcc
	s_cbranch_execz .LBB0_18
; %bb.17:
	v_lshlrev_b32_e32 v1, 7, v60
	v_sub_u32_e32 v1, v9, v1
	v_lshl_add_u32 v1, v59, 4, v1
	ds_read_b128 v[1:4], v1
	ds_read_b128 v[5:8], v62 offset:5760
	ds_read_b128 v[9:12], v62 offset:8832
	;; [unrolled: 1-line block ×6, first 2 shown]
.LBB0_18:
	s_or_b64 exec, exec, s[10:11]
	v_mul_lo_u16_e32 v88, 0x56, v61
	v_mov_b32_e32 v64, 3
	v_mul_lo_u16_sdwa v64, v88, v64 dst_sel:DWORD dst_unused:UNUSED_PAD src0_sel:BYTE_1 src1_sel:DWORD
	v_sub_u16_e32 v64, v61, v64
	v_and_b32_e32 v89, 0xff, v64
	v_mul_u32_u24_e32 v64, 6, v89
	v_lshlrev_b32_e32 v90, 4, v64
	global_load_dwordx4 v[64:67], v90, s[6:7]
	global_load_dwordx4 v[68:71], v90, s[6:7] offset:16
	global_load_dwordx4 v[72:75], v90, s[6:7] offset:80
	;; [unrolled: 1-line block ×5, first 2 shown]
	v_mov_b32_e32 v90, 21
	v_mul_u32_u24_sdwa v88, v88, v90 dst_sel:DWORD dst_unused:UNUSED_PAD src0_sel:BYTE_1 src1_sel:DWORD
	v_add_lshl_u32 v88, v88, v89, 6
	v_add3_u32 v100, 0, v88, v63
	s_mov_b32 s10, 0x37e14327
	s_mov_b32 s18, 0x36b3c0b5
	;; [unrolled: 1-line block ×20, first 2 shown]
	s_waitcnt vmcnt(0) lgkmcnt(0)
	s_barrier
	v_mul_f64 v[88:89], v[51:52], v[66:67]
	v_mul_f64 v[66:67], v[49:50], v[66:67]
	;; [unrolled: 1-line block ×12, first 2 shown]
	v_fma_f64 v[49:50], v[49:50], v[64:65], -v[88:89]
	v_fma_f64 v[51:52], v[51:52], v[64:65], v[66:67]
	v_fma_f64 v[45:46], v[45:46], v[68:69], -v[90:91]
	v_fma_f64 v[47:48], v[47:48], v[68:69], v[70:71]
	;; [unrolled: 2-line block ×6, first 2 shown]
	v_add_f64 v[64:65], v[49:50], v[53:54]
	v_add_f64 v[66:67], v[51:52], v[55:56]
	v_add_f64 v[49:50], v[49:50], -v[53:54]
	v_add_f64 v[51:52], v[51:52], -v[55:56]
	v_add_f64 v[53:54], v[45:46], v[41:42]
	v_add_f64 v[55:56], v[47:48], v[43:44]
	v_add_f64 v[41:42], v[45:46], -v[41:42]
	v_add_f64 v[43:44], v[47:48], -v[43:44]
	;; [unrolled: 4-line block ×4, first 2 shown]
	v_add_f64 v[64:65], v[64:65], -v[45:46]
	v_add_f64 v[66:67], v[66:67], -v[47:48]
	;; [unrolled: 1-line block ×4, first 2 shown]
	v_add_f64 v[72:73], v[33:34], v[41:42]
	v_add_f64 v[74:75], v[35:36], v[43:44]
	v_add_f64 v[76:77], v[33:34], -v[41:42]
	v_add_f64 v[78:79], v[35:36], -v[43:44]
	v_add_f64 v[37:38], v[45:46], v[37:38]
	v_add_f64 v[39:40], v[47:48], v[39:40]
	v_add_f64 v[41:42], v[41:42], -v[49:50]
	v_add_f64 v[43:44], v[43:44], -v[51:52]
	;; [unrolled: 1-line block ×4, first 2 shown]
	v_add_f64 v[45:46], v[72:73], v[49:50]
	v_add_f64 v[47:48], v[74:75], v[51:52]
	v_mul_f64 v[49:50], v[64:65], s[10:11]
	v_mul_f64 v[51:52], v[66:67], s[10:11]
	;; [unrolled: 1-line block ×6, first 2 shown]
	v_add_f64 v[29:30], v[29:30], v[37:38]
	v_add_f64 v[31:32], v[31:32], v[39:40]
	v_mul_f64 v[76:77], v[41:42], s[20:21]
	v_mul_f64 v[78:79], v[43:44], s[20:21]
	v_fma_f64 v[53:54], v[53:54], s[18:19], v[49:50]
	v_fma_f64 v[55:56], v[55:56], s[18:19], v[51:52]
	v_fma_f64 v[64:65], v[68:69], s[26:27], -v[64:65]
	v_fma_f64 v[66:67], v[70:71], s[26:27], -v[66:67]
	;; [unrolled: 1-line block ×4, first 2 shown]
	v_fma_f64 v[68:69], v[33:34], s[30:31], v[72:73]
	v_fma_f64 v[70:71], v[35:36], s[30:31], v[74:75]
	;; [unrolled: 1-line block ×4, first 2 shown]
	v_fma_f64 v[33:34], v[33:34], s[36:37], -v[76:77]
	v_fma_f64 v[35:36], v[35:36], s[36:37], -v[78:79]
	;; [unrolled: 1-line block ×4, first 2 shown]
	v_fma_f64 v[68:69], v[45:46], s[34:35], v[68:69]
	v_fma_f64 v[70:71], v[47:48], s[34:35], v[70:71]
	v_add_f64 v[53:54], v[53:54], v[37:38]
	v_add_f64 v[55:56], v[55:56], v[39:40]
	v_fma_f64 v[76:77], v[45:46], s[34:35], v[33:34]
	v_fma_f64 v[78:79], v[47:48], s[34:35], v[35:36]
	v_add_f64 v[49:50], v[49:50], v[37:38]
	v_add_f64 v[51:52], v[51:52], v[39:40]
	;; [unrolled: 4-line block ×3, first 2 shown]
	v_add_f64 v[33:34], v[70:71], v[53:54]
	v_add_f64 v[35:36], v[55:56], -v[68:69]
	v_add_f64 v[37:38], v[78:79], v[49:50]
	v_add_f64 v[39:40], v[51:52], -v[76:77]
	v_add_f64 v[49:50], v[49:50], -v[78:79]
	v_add_f64 v[51:52], v[76:77], v[51:52]
	v_add_f64 v[41:42], v[45:46], -v[74:75]
	v_add_f64 v[43:44], v[72:73], v[47:48]
	v_add_f64 v[45:46], v[74:75], v[45:46]
	v_add_f64 v[47:48], v[47:48], -v[72:73]
	v_add_f64 v[53:54], v[53:54], -v[70:71]
	v_add_f64 v[55:56], v[68:69], v[55:56]
	ds_write_b128 v100, v[29:32]
	ds_write_b128 v100, v[33:36] offset:192
	ds_write_b128 v100, v[37:40] offset:384
	;; [unrolled: 1-line block ×6, first 2 shown]
	s_and_saveexec_b64 s[38:39], vcc
	s_cbranch_execz .LBB0_20
; %bb.19:
	s_mov_b32 s33, 0xaaab
	v_mul_u32_u24_sdwa v29, v60, s33 dst_sel:DWORD dst_unused:UNUSED_PAD src0_sel:WORD_0 src1_sel:DWORD
	v_lshrrev_b32_e32 v29, 17, v29
	v_mul_lo_u16_e32 v29, 3, v29
	v_sub_u16_e32 v72, v60, v29
	v_mul_u32_u24_e32 v29, 6, v72
	v_lshlrev_b32_e32 v53, 4, v29
	global_load_dwordx4 v[29:32], v53, s[6:7] offset:48
	global_load_dwordx4 v[33:36], v53, s[6:7] offset:32
	;; [unrolled: 1-line block ×4, first 2 shown]
	global_load_dwordx4 v[45:48], v53, s[6:7]
	global_load_dwordx4 v[49:52], v53, s[6:7] offset:80
	s_movk_i32 s33, 0xab
	v_mul_lo_u16_sdwa v53, v60, s33 dst_sel:DWORD dst_unused:UNUSED_PAD src0_sel:BYTE_0 src1_sel:DWORD
	v_lshrrev_b16_e32 v73, 9, v53
	s_waitcnt vmcnt(5)
	v_mul_f64 v[53:54], v[19:20], v[31:32]
	s_waitcnt vmcnt(4)
	v_mul_f64 v[55:56], v[15:16], v[35:36]
	;; [unrolled: 2-line block ×6, first 2 shown]
	v_mul_f64 v[39:40], v[9:10], v[39:40]
	v_mul_f64 v[43:44], v[21:22], v[43:44]
	;; [unrolled: 1-line block ×6, first 2 shown]
	v_fma_f64 v[9:10], v[9:10], v[37:38], -v[64:65]
	v_fma_f64 v[21:22], v[21:22], v[41:42], -v[66:67]
	;; [unrolled: 1-line block ×4, first 2 shown]
	v_fma_f64 v[11:12], v[11:12], v[37:38], v[39:40]
	v_fma_f64 v[23:24], v[23:24], v[41:42], v[43:44]
	;; [unrolled: 1-line block ×4, first 2 shown]
	v_fma_f64 v[17:18], v[17:18], v[29:30], -v[53:54]
	v_fma_f64 v[13:14], v[13:14], v[33:34], -v[55:56]
	v_fma_f64 v[15:16], v[15:16], v[33:34], v[35:36]
	v_fma_f64 v[19:20], v[19:20], v[29:30], v[31:32]
	v_add_f64 v[31:32], v[9:10], -v[21:22]
	v_add_f64 v[33:34], v[5:6], -v[25:26]
	v_add_f64 v[37:38], v[11:12], v[23:24]
	v_add_f64 v[39:40], v[7:8], v[27:28]
	;; [unrolled: 1-line block ×4, first 2 shown]
	v_mul_u32_u24_e32 v29, 21, v73
	v_add_lshl_u32 v49, v29, v72, 6
	v_add_f64 v[29:30], v[17:18], -v[13:14]
	v_add_f64 v[35:36], v[15:16], v[19:20]
	v_add_f64 v[13:14], v[13:14], v[17:18]
	v_add_f64 v[15:16], v[19:20], -v[15:16]
	v_add_f64 v[11:12], v[11:12], -v[23:24]
	;; [unrolled: 1-line block ×3, first 2 shown]
	v_add_f64 v[27:28], v[37:38], v[39:40]
	v_add_f64 v[43:44], v[9:10], v[5:6]
	;; [unrolled: 1-line block ×3, first 2 shown]
	v_add_f64 v[19:20], v[29:30], -v[31:32]
	v_add_f64 v[21:22], v[33:34], -v[29:30]
	;; [unrolled: 1-line block ×6, first 2 shown]
	v_add_f64 v[27:28], v[35:36], v[27:28]
	v_add_f64 v[13:14], v[13:14], v[43:44]
	v_add_f64 v[31:32], v[31:32], -v[33:34]
	v_add_f64 v[5:6], v[9:10], -v[5:6]
	;; [unrolled: 1-line block ×4, first 2 shown]
	v_add_f64 v[45:46], v[15:16], v[11:12]
	v_add_f64 v[15:16], v[7:8], -v[15:16]
	v_add_f64 v[37:38], v[37:38], -v[39:40]
	v_add_f64 v[11:12], v[17:18], v[33:34]
	v_mul_f64 v[17:18], v[19:20], s[24:25]
	v_mul_f64 v[25:26], v[25:26], s[10:11]
	;; [unrolled: 1-line block ×4, first 2 shown]
	v_add_f64 v[3:4], v[3:4], v[27:28]
	v_add_f64 v[1:2], v[1:2], v[13:14]
	v_mul_f64 v[41:42], v[31:32], s[20:21]
	v_mul_f64 v[43:44], v[9:10], s[20:21]
	;; [unrolled: 1-line block ×4, first 2 shown]
	v_add_f64 v[7:8], v[45:46], v[7:8]
	v_fma_f64 v[45:46], v[21:22], s[30:31], v[17:18]
	v_fma_f64 v[23:24], v[23:24], s[18:19], v[25:26]
	;; [unrolled: 1-line block ×6, first 2 shown]
	v_fma_f64 v[21:22], v[21:22], s[36:37], -v[41:42]
	v_fma_f64 v[25:26], v[37:38], s[28:29], -v[25:26]
	;; [unrolled: 1-line block ×8, first 2 shown]
	v_fma_f64 v[31:32], v[11:12], s[34:35], v[45:46]
	v_fma_f64 v[33:34], v[7:8], s[34:35], v[47:48]
	v_add_f64 v[37:38], v[23:24], v[27:28]
	v_add_f64 v[29:30], v[29:30], v[13:14]
	v_fma_f64 v[21:22], v[11:12], s[34:35], v[21:22]
	v_add_f64 v[23:24], v[25:26], v[27:28]
	v_fma_f64 v[39:40], v[7:8], s[34:35], v[15:16]
	;; [unrolled: 2-line block ×4, first 2 shown]
	v_add_f64 v[5:6], v[5:6], v[13:14]
	v_add_f64 v[27:28], v[37:38], -v[31:32]
	v_add_f64 v[25:26], v[33:34], v[29:30]
	v_add_f64 v[11:12], v[21:22], v[23:24]
	v_add_f64 v[23:24], v[23:24], -v[21:22]
	v_add_f64 v[21:22], v[39:40], v[35:36]
	v_add_f64 v[15:16], v[19:20], -v[17:18]
	;; [unrolled: 2-line block ×5, first 2 shown]
	v_add3_u32 v29, 0, v49, v63
	ds_write_b128 v29, v[1:4]
	ds_write_b128 v29, v[25:28] offset:192
	ds_write_b128 v29, v[21:24] offset:384
	;; [unrolled: 1-line block ×6, first 2 shown]
.LBB0_20:
	s_or_b64 exec, exec, s[38:39]
	v_mul_lo_u16_e32 v1, 49, v61
	v_lshrrev_b16_e32 v3, 10, v1
	v_mul_lo_u16_e32 v1, 21, v3
	v_sub_u16_e32 v1, v61, v1
	v_and_b32_e32 v6, 0xff, v1
	v_mul_u32_u24_e32 v1, 7, v6
	v_lshlrev_b32_e32 v1, 4, v1
	s_waitcnt lgkmcnt(0)
	s_barrier
	global_load_dwordx4 v[8:11], v1, s[6:7] offset:288
	global_load_dwordx4 v[12:15], v1, s[6:7] offset:304
	;; [unrolled: 1-line block ×7, first 2 shown]
	v_add_u32_e32 v2, 0x54, v61
	v_lshlrev_b32_e32 v4, 6, v60
	v_add_u32_e32 v1, 0x7e, v61
	v_add3_u32 v7, 0, v4, v63
	v_lshlrev_b32_e32 v4, 6, v2
	v_lshlrev_b32_e32 v5, 6, v1
	v_add3_u32 v4, 0, v4, v63
	ds_read_b128 v[36:39], v62
	ds_read_b128 v[40:43], v62 offset:10752
	ds_read_b128 v[44:47], v62 offset:13440
	;; [unrolled: 1-line block ×3, first 2 shown]
	v_add3_u32 v5, 0, v5, v63
	ds_read_b128 v[52:55], v7
	ds_read_b128 v[64:67], v62 offset:18816
	ds_read_b128 v[68:71], v4
	ds_read_b128 v[72:75], v5
	s_mov_b32 s10, 0x667f3bcd
	s_mov_b32 s11, 0xbfe6a09e
	;; [unrolled: 1-line block ×4, first 2 shown]
	v_cmp_gt_u64_e32 vcc, s[16:17], v[57:58]
	v_mul_u32_u24_e32 v3, 0xa8, v3
	v_add_lshl_u32 v3, v3, v6, 6
	s_movk_i32 s20, 0xa8
	v_add3_u32 v3, 0, v3, v63
	s_or_b64 s[0:1], s[0:1], vcc
	s_waitcnt vmcnt(0) lgkmcnt(0)
	s_barrier
	v_mul_f64 v[76:77], v[54:55], v[10:11]
	v_mul_f64 v[10:11], v[52:53], v[10:11]
	;; [unrolled: 1-line block ×14, first 2 shown]
	v_fma_f64 v[52:53], v[52:53], v[8:9], -v[76:77]
	v_fma_f64 v[8:9], v[54:55], v[8:9], v[10:11]
	v_fma_f64 v[10:11], v[68:69], v[12:13], -v[78:79]
	v_fma_f64 v[12:13], v[70:71], v[12:13], v[14:15]
	;; [unrolled: 2-line block ×7, first 2 shown]
	v_add_f64 v[18:19], v[36:37], -v[18:19]
	v_add_f64 v[20:21], v[38:39], -v[20:21]
	;; [unrolled: 1-line block ×8, first 2 shown]
	v_fma_f64 v[34:35], v[36:37], 2.0, -v[18:19]
	v_fma_f64 v[36:37], v[38:39], 2.0, -v[20:21]
	;; [unrolled: 1-line block ×8, first 2 shown]
	v_add_f64 v[28:29], v[18:19], -v[28:29]
	v_add_f64 v[40:41], v[20:21], v[22:23]
	v_add_f64 v[22:23], v[30:31], -v[32:33]
	v_add_f64 v[26:27], v[24:25], v[26:27]
	v_add_f64 v[32:33], v[34:35], -v[10:11]
	v_add_f64 v[42:43], v[36:37], -v[12:13]
	;; [unrolled: 1-line block ×4, first 2 shown]
	v_fma_f64 v[44:45], v[18:19], 2.0, -v[28:29]
	v_fma_f64 v[46:47], v[20:21], 2.0, -v[40:41]
	;; [unrolled: 1-line block ×4, first 2 shown]
	v_fma_f64 v[14:15], v[22:23], s[18:19], v[28:29]
	v_fma_f64 v[16:17], v[26:27], s[18:19], v[40:41]
	v_fma_f64 v[34:35], v[34:35], 2.0, -v[32:33]
	v_fma_f64 v[36:37], v[36:37], 2.0, -v[42:43]
	;; [unrolled: 1-line block ×4, first 2 shown]
	v_fma_f64 v[38:39], v[30:31], s[10:11], v[44:45]
	v_fma_f64 v[48:49], v[20:21], s[10:11], v[46:47]
	v_add_f64 v[8:9], v[32:33], -v[12:13]
	v_add_f64 v[10:11], v[42:43], v[10:11]
	v_fma_f64 v[12:13], v[26:27], s[10:11], v[14:15]
	v_fma_f64 v[14:15], v[22:23], s[18:19], v[16:17]
	v_add_f64 v[16:17], v[34:35], -v[18:19]
	v_add_f64 v[18:19], v[36:37], -v[24:25]
	v_fma_f64 v[20:21], v[20:21], s[10:11], v[38:39]
	v_fma_f64 v[22:23], v[30:31], s[18:19], v[48:49]
	v_fma_f64 v[24:25], v[32:33], 2.0, -v[8:9]
	v_fma_f64 v[26:27], v[42:43], 2.0, -v[10:11]
	v_fma_f64 v[28:29], v[28:29], 2.0, -v[12:13]
	v_fma_f64 v[30:31], v[40:41], 2.0, -v[14:15]
	v_fma_f64 v[32:33], v[34:35], 2.0, -v[16:17]
	v_fma_f64 v[34:35], v[36:37], 2.0, -v[18:19]
	v_fma_f64 v[36:37], v[44:45], 2.0, -v[20:21]
	v_fma_f64 v[38:39], v[46:47], 2.0, -v[22:23]
	ds_write_b128 v3, v[8:11] offset:8064
	ds_write_b128 v3, v[12:15] offset:9408
	;; [unrolled: 1-line block ×6, first 2 shown]
	ds_write_b128 v3, v[32:35]
	ds_write_b128 v3, v[36:39] offset:1344
	s_waitcnt lgkmcnt(0)
	s_barrier
	s_and_saveexec_b64 s[10:11], s[0:1]
	s_cbranch_execz .LBB0_22
; %bb.21:
	v_mul_u32_u24_e32 v3, 0x187, v1
	v_mul_lo_u16_sdwa v3, v3, s20 dst_sel:DWORD dst_unused:UNUSED_PAD src0_sel:WORD_1 src1_sel:DWORD
	v_sub_u16_e32 v3, v1, v3
	v_lshlrev_b32_e32 v8, 4, v3
	global_load_dwordx4 v[8:11], v8, s[6:7] offset:2640
	v_add_u32_e32 v6, 0xa8, v3
	s_load_dwordx2 s[0:1], s[4:5], 0x8
	v_mul_lo_u32 v6, v57, v6
	v_mov_b32_e32 v58, 4
	v_mul_lo_u32 v21, v57, v3
	v_mov_b32_e32 v95, 0x1000
	v_lshlrev_b32_sdwa v20, v58, v6 dst_sel:DWORD dst_unused:UNUSED_PAD src0_sel:DWORD src1_sel:BYTE_0
	v_bfe_u32 v6, v6, 8, 8
	v_lshl_or_b32 v6, v6, 4, v95
	s_waitcnt lgkmcnt(0)
	global_load_dwordx4 v[12:15], v20, s[0:1]
	global_load_dwordx4 v[16:19], v6, s[0:1]
	v_lshlrev_b32_sdwa v6, v58, v21 dst_sel:DWORD dst_unused:UNUSED_PAD src0_sel:DWORD src1_sel:BYTE_0
	v_bfe_u32 v20, v21, 8, 8
	v_lshl_or_b32 v28, v20, 4, v95
	global_load_dwordx4 v[20:23], v6, s[0:1]
	global_load_dwordx4 v[24:27], v28, s[0:1]
	v_mul_u32_u24_e32 v6, 0x187, v2
	v_mul_lo_u16_sdwa v6, v6, s20 dst_sel:DWORD dst_unused:UNUSED_PAD src0_sel:WORD_1 src1_sel:DWORD
	v_sub_u16_e32 v6, v2, v6
	v_add_u32_e32 v28, 0xa8, v6
	v_mul_lo_u32 v32, v57, v28
	v_lshlrev_b32_e32 v28, 4, v6
	global_load_dwordx4 v[28:31], v28, s[6:7] offset:2640
	v_mul_lo_u32 v41, v57, v6
	v_lshlrev_b32_sdwa v40, v58, v32 dst_sel:DWORD dst_unused:UNUSED_PAD src0_sel:DWORD src1_sel:BYTE_0
	v_bfe_u32 v32, v32, 8, 8
	v_lshl_or_b32 v42, v32, 4, v95
	global_load_dwordx4 v[32:35], v40, s[0:1]
	global_load_dwordx4 v[36:39], v42, s[0:1]
	s_movk_i32 s4, 0x1f8
	v_add_u32_e32 v40, 0xffffff82, v61
	v_cmp_gt_u32_e32 vcc, s4, v0
	v_cndmask_b32_e32 v111, v40, v60, vcc
	v_mov_b32_e32 v112, 0
	v_lshlrev_b32_sdwa v52, v58, v41 dst_sel:DWORD dst_unused:UNUSED_PAD src0_sel:DWORD src1_sel:BYTE_0
	v_bfe_u32 v44, v41, 8, 8
	v_lshlrev_b64 v[40:41], 4, v[111:112]
	v_mov_b32_e32 v56, s7
	v_add_co_u32_e32 v40, vcc, s6, v40
	v_addc_co_u32_e32 v41, vcc, v56, v41, vcc
	global_load_dwordx4 v[40:43], v[40:41], off offset:2640
	v_add_u32_e32 v45, 0xa8, v111
	v_mul_lo_u32 v53, v57, v45
	v_lshl_or_b32 v54, v44, 4, v95
	global_load_dwordx4 v[44:47], v52, s[0:1]
	global_load_dwordx4 v[48:51], v54, s[0:1]
	v_mul_lo_u32 v71, v57, v111
	v_lshlrev_b32_sdwa v67, v58, v53 dst_sel:DWORD dst_unused:UNUSED_PAD src0_sel:DWORD src1_sel:BYTE_0
	v_bfe_u32 v52, v53, 8, 8
	v_lshl_or_b32 v68, v52, 4, v95
	global_load_dwordx4 v[52:55], v67, s[0:1]
	global_load_dwordx4 v[63:66], v68, s[0:1]
	s_movk_i32 s4, 0x2a0
	v_lshlrev_b32_sdwa v83, v58, v71 dst_sel:DWORD dst_unused:UNUSED_PAD src0_sel:DWORD src1_sel:BYTE_0
	v_bfe_u32 v75, v71, 8, 8
	v_add_u32_e32 v71, 0xffffff58, v61
	v_cmp_gt_u32_e32 vcc, s4, v0
	v_cndmask_b32_e32 v113, v71, v61, vcc
	v_mov_b32_e32 v114, v112
	v_lshlrev_b64 v[71:72], 4, v[113:114]
	ds_read_b128 v[67:70], v62 offset:18816
	v_add_co_u32_e32 v71, vcc, s6, v71
	v_addc_co_u32_e32 v72, vcc, v56, v72, vcc
	global_load_dwordx4 v[71:74], v[71:72], off offset:2640
	v_add_u32_e32 v56, 0xa8, v113
	v_mul_lo_u32 v56, v57, v56
	v_lshl_or_b32 v61, v75, 4, v95
	global_load_dwordx4 v[75:78], v83, s[0:1]
	global_load_dwordx4 v[79:82], v61, s[0:1]
	v_lshlrev_b32_sdwa v61, v58, v56 dst_sel:DWORD dst_unused:UNUSED_PAD src0_sel:DWORD src1_sel:BYTE_0
	v_bfe_u32 v56, v56, 8, 8
	v_lshl_or_b32 v56, v56, 4, v95
	global_load_dwordx4 v[83:86], v61, s[0:1]
	global_load_dwordx4 v[87:90], v56, s[0:1]
	ds_read_b128 v[91:94], v7
	v_mul_lo_u32 v7, v57, v113
	v_lshlrev_b32_sdwa v58, v58, v7 dst_sel:DWORD dst_unused:UNUSED_PAD src0_sel:DWORD src1_sel:BYTE_0
	v_bfe_u32 v7, v7, 8, 8
	v_lshl_or_b32 v7, v7, 4, v95
	global_load_dwordx4 v[95:98], v58, s[0:1]
	global_load_dwordx4 v[99:102], v7, s[0:1]
	s_waitcnt vmcnt(19) lgkmcnt(1)
	v_mul_f64 v[56:57], v[69:70], v[10:11]
	v_mul_f64 v[10:11], v[67:68], v[10:11]
	s_waitcnt vmcnt(17)
	v_mul_f64 v[116:117], v[12:13], v[18:19]
	v_fma_f64 v[56:57], v[67:68], v[8:9], -v[56:57]
	v_fma_f64 v[114:115], v[69:70], v[8:9], v[10:11]
	ds_read_b128 v[7:10], v5
	ds_read_b128 v[67:70], v4
	s_waitcnt vmcnt(15)
	v_mul_f64 v[4:5], v[22:23], v[26:27]
	v_mul_f64 v[26:27], v[20:21], v[26:27]
	ds_read_b128 v[103:106], v62 offset:16128
	ds_read_b128 v[107:110], v62 offset:13440
	v_mul_f64 v[18:19], v[14:15], v[18:19]
	s_waitcnt lgkmcnt(3)
	v_add_f64 v[56:57], v[7:8], -v[56:57]
	v_add_f64 v[114:115], v[9:10], -v[114:115]
	v_fma_f64 v[14:15], v[14:15], v[16:17], v[116:117]
	s_waitcnt vmcnt(14) lgkmcnt(1)
	v_mul_f64 v[118:119], v[105:106], v[30:31]
	v_fma_f64 v[4:5], v[20:21], v[24:25], -v[4:5]
	v_fma_f64 v[20:21], v[22:23], v[24:25], v[26:27]
	v_fma_f64 v[11:12], v[12:13], v[16:17], -v[18:19]
	v_fma_f64 v[22:23], v[7:8], 2.0, -v[56:57]
	v_mul_f64 v[7:8], v[103:104], v[30:31]
	v_fma_f64 v[24:25], v[9:10], 2.0, -v[114:115]
	s_waitcnt vmcnt(12)
	v_mul_f64 v[9:10], v[32:33], v[38:39]
	v_mul_f64 v[16:17], v[56:57], v[14:15]
	v_fma_f64 v[26:27], v[103:104], v[28:29], -v[118:119]
	v_mul_f64 v[13:14], v[114:115], v[14:15]
	v_mul_f64 v[30:31], v[34:35], v[38:39]
	;; [unrolled: 1-line block ×3, first 2 shown]
	v_fma_f64 v[28:29], v[105:106], v[28:29], v[7:8]
	v_mul_f64 v[20:21], v[24:25], v[20:21]
	v_fma_f64 v[34:35], v[34:35], v[36:37], v[9:10]
	v_fma_f64 v[9:10], v[114:115], v[11:12], v[16:17]
	s_waitcnt vmcnt(11) lgkmcnt(0)
	v_mul_f64 v[15:16], v[109:110], v[42:43]
	v_add_f64 v[38:39], v[67:68], -v[26:27]
	v_fma_f64 v[7:8], v[56:57], v[11:12], -v[13:14]
	v_fma_f64 v[13:14], v[24:25], v[4:5], v[18:19]
	s_waitcnt vmcnt(9)
	v_mul_f64 v[17:18], v[44:45], v[50:51]
	v_fma_f64 v[11:12], v[22:23], v[4:5], -v[20:21]
	v_add_f64 v[4:5], v[69:70], -v[28:29]
	v_mul_f64 v[19:20], v[107:108], v[42:43]
	v_mul_f64 v[21:22], v[46:47], v[50:51]
	v_fma_f64 v[15:16], v[107:108], v[40:41], -v[15:16]
	s_waitcnt vmcnt(7)
	v_mul_f64 v[27:28], v[52:53], v[65:66]
	v_fma_f64 v[23:24], v[32:33], v[36:37], -v[30:31]
	v_mul_f64 v[25:26], v[38:39], v[34:35]
	v_fma_f64 v[31:32], v[67:68], 2.0, -v[38:39]
	v_fma_f64 v[29:30], v[46:47], v[48:49], v[17:18]
	v_mul_f64 v[33:34], v[4:5], v[34:35]
	v_fma_f64 v[35:36], v[69:70], 2.0, -v[4:5]
	v_fma_f64 v[40:41], v[109:110], v[40:41], v[19:20]
	v_add_f64 v[46:47], v[91:92], -v[15:16]
	v_fma_f64 v[50:51], v[54:55], v[63:64], v[27:28]
	v_fma_f64 v[27:28], v[44:45], v[48:49], -v[21:22]
	ds_read_b128 v[15:18], v62
	ds_read_b128 v[19:22], v62 offset:10752
	v_mul_f64 v[44:45], v[31:32], v[29:30]
	v_mul_f64 v[42:43], v[54:55], v[65:66]
	;; [unrolled: 1-line block ×3, first 2 shown]
	v_fma_f64 v[25:26], v[4:5], v[23:24], v[25:26]
	s_waitcnt vmcnt(6) lgkmcnt(0)
	v_mul_f64 v[54:55], v[21:22], v[73:74]
	v_mul_f64 v[4:5], v[19:20], v[73:74]
	v_add_f64 v[40:41], v[93:94], -v[40:41]
	v_fma_f64 v[23:24], v[38:39], v[23:24], -v[33:34]
	v_fma_f64 v[29:30], v[35:36], v[27:28], v[44:45]
	v_fma_f64 v[42:43], v[52:53], v[63:64], -v[42:43]
	v_fma_f64 v[27:28], v[31:32], v[27:28], -v[48:49]
	s_waitcnt vmcnt(4)
	v_mul_f64 v[31:32], v[75:76], v[81:82]
	v_mul_f64 v[52:53], v[46:47], v[50:51]
	v_fma_f64 v[19:20], v[19:20], v[71:72], -v[54:55]
	s_waitcnt vmcnt(2)
	v_mul_f64 v[35:36], v[83:84], v[89:90]
	v_fma_f64 v[4:5], v[21:22], v[71:72], v[4:5]
	v_fma_f64 v[21:22], v[93:94], 2.0, -v[40:41]
	v_mul_f64 v[37:38], v[77:78], v[81:82]
	v_fma_f64 v[44:45], v[91:92], 2.0, -v[46:47]
	v_fma_f64 v[31:32], v[77:78], v[79:80], v[31:32]
	v_fma_f64 v[33:34], v[40:41], v[42:43], v[52:53]
	v_mul_f64 v[48:49], v[85:86], v[89:90]
	v_add_f64 v[19:20], v[15:16], -v[19:20]
	v_fma_f64 v[35:36], v[85:86], v[87:88], v[35:36]
	v_add_f64 v[4:5], v[17:18], -v[4:5]
	v_mul_f64 v[39:40], v[40:41], v[50:51]
	s_waitcnt vmcnt(0)
	v_mul_f64 v[50:51], v[95:96], v[101:102]
	v_fma_f64 v[37:38], v[75:76], v[79:80], -v[37:38]
	v_mul_f64 v[52:53], v[44:45], v[31:32]
	v_mul_f64 v[54:55], v[21:22], v[31:32]
	v_fma_f64 v[48:49], v[83:84], v[87:88], -v[48:49]
	v_mul_f64 v[56:57], v[19:20], v[35:36]
	v_mul_f64 v[35:36], v[4:5], v[35:36]
	;; [unrolled: 1-line block ×3, first 2 shown]
	v_fma_f64 v[63:64], v[15:16], 2.0, -v[19:20]
	v_fma_f64 v[50:51], v[97:98], v[99:100], v[50:51]
	v_fma_f64 v[65:66], v[17:18], 2.0, -v[4:5]
	v_fma_f64 v[31:32], v[46:47], v[42:43], -v[39:40]
	v_mad_u64_u32 v[41:42], s[0:1], s8, v59, 0
	s_movk_i32 s0, 0x29f
	v_fma_f64 v[17:18], v[21:22], v[37:38], v[52:53]
	v_fma_f64 v[15:16], v[44:45], v[37:38], -v[54:55]
	v_mov_b32_e32 v37, 0x150
	v_cmp_lt_u32_e32 vcc, s0, v0
	v_cndmask_b32_e32 v0, 0, v37, vcc
	v_fma_f64 v[21:22], v[4:5], v[48:49], v[56:57]
	v_fma_f64 v[19:20], v[19:20], v[48:49], -v[35:36]
	v_fma_f64 v[4:5], v[95:96], v[99:100], -v[61:62]
	v_mul_f64 v[35:36], v[63:64], v[50:51]
	v_mul_f64 v[39:40], v[65:66], v[50:51]
	v_add_u32_e32 v48, v113, v0
	v_mad_u64_u32 v[43:44], s[0:1], s12, v48, 0
	v_mov_b32_e32 v0, v42
	v_mad_u64_u32 v[45:46], s[0:1], s9, v59, v[0:1]
	v_mov_b32_e32 v0, v44
	v_mad_u64_u32 v[46:47], s[0:1], s13, v48, v[0:1]
	s_lshl_b64 s[0:1], s[2:3], 4
	v_fma_f64 v[37:38], v[65:66], v[4:5], v[35:36]
	v_fma_f64 v[35:36], v[63:64], v[4:5], -v[39:40]
	v_mov_b32_e32 v42, v45
	s_add_u32 s2, s14, s0
	s_addc_u32 s0, s15, s1
	v_lshlrev_b64 v[4:5], 4, v[41:42]
	v_add_u32_e32 v41, 0xa8, v48
	v_mov_b32_e32 v0, s0
	v_mad_u64_u32 v[39:40], s[0:1], s12, v41, 0
	v_mov_b32_e32 v44, v46
	v_add_co_u32_e32 v42, vcc, s2, v4
	v_addc_co_u32_e32 v45, vcc, v0, v5, vcc
	v_lshlrev_b64 v[4:5], 4, v[43:44]
	v_mov_b32_e32 v0, v40
	v_add_co_u32_e32 v4, vcc, v42, v4
	v_mad_u64_u32 v[40:41], s[0:1], s13, v41, v[0:1]
	v_addc_co_u32_e32 v5, vcc, v45, v5, vcc
	v_sub_u32_e32 v0, v60, v111
	global_store_dwordx4 v[4:5], v[35:38], off
	v_lshlrev_b64 v[4:5], 4, v[39:40]
	v_add_u32_e32 v38, v0, v60
	v_mad_u64_u32 v[35:36], s[0:1], s12, v38, 0
	v_add_u32_e32 v39, 0xa8, v38
	v_add_co_u32_e32 v4, vcc, v42, v4
	v_mov_b32_e32 v0, v36
	v_mad_u64_u32 v[36:37], s[0:1], s13, v38, v[0:1]
	v_mad_u64_u32 v[37:38], s[0:1], s12, v39, 0
	v_addc_co_u32_e32 v5, vcc, v45, v5, vcc
	global_store_dwordx4 v[4:5], v[19:22], off
	v_lshlrev_b64 v[4:5], 4, v[35:36]
	v_mov_b32_e32 v0, v38
	v_mad_u64_u32 v[19:20], s[0:1], s13, v39, v[0:1]
	v_add_co_u32_e32 v4, vcc, v42, v4
	v_sub_u32_e32 v0, v2, v6
	v_addc_co_u32_e32 v5, vcc, v45, v5, vcc
	v_add_u32_e32 v2, v0, v2
	global_store_dwordx4 v[4:5], v[15:18], off
	v_mov_b32_e32 v38, v19
	v_mad_u64_u32 v[15:16], s[0:1], s12, v2, 0
	v_lshlrev_b64 v[4:5], 4, v[37:38]
	v_mov_b32_e32 v0, v16
	v_mad_u64_u32 v[16:17], s[0:1], s13, v2, v[0:1]
	v_add_u32_e32 v2, 0xa8, v2
	v_mad_u64_u32 v[17:18], s[0:1], s12, v2, 0
	v_add_co_u32_e32 v4, vcc, v42, v4
	v_addc_co_u32_e32 v5, vcc, v45, v5, vcc
	v_mov_b32_e32 v0, v18
	global_store_dwordx4 v[4:5], v[31:34], off
	v_lshlrev_b64 v[4:5], 4, v[15:16]
	v_mad_u64_u32 v[15:16], s[0:1], s13, v2, v[0:1]
	v_sub_u32_e32 v0, v1, v3
	v_add_co_u32_e32 v4, vcc, v42, v4
	v_add_u32_e32 v6, v0, v1
	v_addc_co_u32_e32 v5, vcc, v45, v5, vcc
	v_mov_b32_e32 v18, v15
	v_mad_u64_u32 v[0:1], s[0:1], s12, v6, 0
	global_store_dwordx4 v[4:5], v[27:30], off
	v_lshlrev_b64 v[4:5], 4, v[17:18]
	v_add_u32_e32 v15, 0xa8, v6
	v_add_co_u32_e32 v2, vcc, v42, v4
	v_addc_co_u32_e32 v3, vcc, v45, v5, vcc
	v_mad_u64_u32 v[4:5], s[0:1], s13, v6, v[1:2]
	v_mad_u64_u32 v[5:6], s[0:1], s12, v15, 0
	global_store_dwordx4 v[2:3], v[23:26], off
	v_mov_b32_e32 v1, v4
	v_mov_b32_e32 v2, v6
	v_mad_u64_u32 v[2:3], s[0:1], s13, v15, v[2:3]
	v_lshlrev_b64 v[0:1], 4, v[0:1]
	v_add_co_u32_e32 v0, vcc, v42, v0
	v_addc_co_u32_e32 v1, vcc, v45, v1, vcc
	v_mov_b32_e32 v6, v2
	global_store_dwordx4 v[0:1], v[11:14], off
	v_lshlrev_b64 v[0:1], 4, v[5:6]
	v_add_co_u32_e32 v0, vcc, v42, v0
	v_addc_co_u32_e32 v1, vcc, v45, v1, vcc
	global_store_dwordx4 v[0:1], v[7:10], off
.LBB0_22:
	s_endpgm
	.section	.rodata,"a",@progbits
	.p2align	6, 0x0
	.amdhsa_kernel fft_rtc_fwd_len336_factors_3_7_8_2_wgs_168_tpt_42_dim2_dp_ip_CI_sbcc_twdbase8_2step_dirReg
		.amdhsa_group_segment_fixed_size 0
		.amdhsa_private_segment_fixed_size 0
		.amdhsa_kernarg_size 88
		.amdhsa_user_sgpr_count 6
		.amdhsa_user_sgpr_private_segment_buffer 1
		.amdhsa_user_sgpr_dispatch_ptr 0
		.amdhsa_user_sgpr_queue_ptr 0
		.amdhsa_user_sgpr_kernarg_segment_ptr 1
		.amdhsa_user_sgpr_dispatch_id 0
		.amdhsa_user_sgpr_flat_scratch_init 0
		.amdhsa_user_sgpr_private_segment_size 0
		.amdhsa_uses_dynamic_stack 0
		.amdhsa_system_sgpr_private_segment_wavefront_offset 0
		.amdhsa_system_sgpr_workgroup_id_x 1
		.amdhsa_system_sgpr_workgroup_id_y 0
		.amdhsa_system_sgpr_workgroup_id_z 0
		.amdhsa_system_sgpr_workgroup_info 0
		.amdhsa_system_vgpr_workitem_id 0
		.amdhsa_next_free_vgpr 120
		.amdhsa_next_free_sgpr 40
		.amdhsa_reserve_vcc 1
		.amdhsa_reserve_flat_scratch 0
		.amdhsa_float_round_mode_32 0
		.amdhsa_float_round_mode_16_64 0
		.amdhsa_float_denorm_mode_32 3
		.amdhsa_float_denorm_mode_16_64 3
		.amdhsa_dx10_clamp 1
		.amdhsa_ieee_mode 1
		.amdhsa_fp16_overflow 0
		.amdhsa_exception_fp_ieee_invalid_op 0
		.amdhsa_exception_fp_denorm_src 0
		.amdhsa_exception_fp_ieee_div_zero 0
		.amdhsa_exception_fp_ieee_overflow 0
		.amdhsa_exception_fp_ieee_underflow 0
		.amdhsa_exception_fp_ieee_inexact 0
		.amdhsa_exception_int_div_zero 0
	.end_amdhsa_kernel
	.text
.Lfunc_end0:
	.size	fft_rtc_fwd_len336_factors_3_7_8_2_wgs_168_tpt_42_dim2_dp_ip_CI_sbcc_twdbase8_2step_dirReg, .Lfunc_end0-fft_rtc_fwd_len336_factors_3_7_8_2_wgs_168_tpt_42_dim2_dp_ip_CI_sbcc_twdbase8_2step_dirReg
                                        ; -- End function
	.section	.AMDGPU.csdata,"",@progbits
; Kernel info:
; codeLenInByte = 7396
; NumSgprs: 44
; NumVgprs: 120
; ScratchSize: 0
; MemoryBound: 1
; FloatMode: 240
; IeeeMode: 1
; LDSByteSize: 0 bytes/workgroup (compile time only)
; SGPRBlocks: 5
; VGPRBlocks: 29
; NumSGPRsForWavesPerEU: 44
; NumVGPRsForWavesPerEU: 120
; Occupancy: 2
; WaveLimiterHint : 1
; COMPUTE_PGM_RSRC2:SCRATCH_EN: 0
; COMPUTE_PGM_RSRC2:USER_SGPR: 6
; COMPUTE_PGM_RSRC2:TRAP_HANDLER: 0
; COMPUTE_PGM_RSRC2:TGID_X_EN: 1
; COMPUTE_PGM_RSRC2:TGID_Y_EN: 0
; COMPUTE_PGM_RSRC2:TGID_Z_EN: 0
; COMPUTE_PGM_RSRC2:TIDIG_COMP_CNT: 0
	.type	__hip_cuid_7541f76410aa2b49,@object ; @__hip_cuid_7541f76410aa2b49
	.section	.bss,"aw",@nobits
	.globl	__hip_cuid_7541f76410aa2b49
__hip_cuid_7541f76410aa2b49:
	.byte	0                               ; 0x0
	.size	__hip_cuid_7541f76410aa2b49, 1

	.ident	"AMD clang version 19.0.0git (https://github.com/RadeonOpenCompute/llvm-project roc-6.4.0 25133 c7fe45cf4b819c5991fe208aaa96edf142730f1d)"
	.section	".note.GNU-stack","",@progbits
	.addrsig
	.addrsig_sym __hip_cuid_7541f76410aa2b49
	.amdgpu_metadata
---
amdhsa.kernels:
  - .args:
      - .actual_access:  read_only
        .address_space:  global
        .offset:         0
        .size:           8
        .value_kind:     global_buffer
      - .address_space:  global
        .offset:         8
        .size:           8
        .value_kind:     global_buffer
      - .actual_access:  read_only
        .address_space:  global
        .offset:         16
        .size:           8
        .value_kind:     global_buffer
      - .actual_access:  read_only
        .address_space:  global
        .offset:         24
        .size:           8
        .value_kind:     global_buffer
      - .offset:         32
        .size:           8
        .value_kind:     by_value
      - .actual_access:  read_only
        .address_space:  global
        .offset:         40
        .size:           8
        .value_kind:     global_buffer
      - .actual_access:  read_only
        .address_space:  global
        .offset:         48
        .size:           8
        .value_kind:     global_buffer
      - .offset:         56
        .size:           4
        .value_kind:     by_value
      - .actual_access:  read_only
        .address_space:  global
        .offset:         64
        .size:           8
        .value_kind:     global_buffer
      - .actual_access:  read_only
        .address_space:  global
        .offset:         72
        .size:           8
        .value_kind:     global_buffer
      - .address_space:  global
        .offset:         80
        .size:           8
        .value_kind:     global_buffer
    .group_segment_fixed_size: 0
    .kernarg_segment_align: 8
    .kernarg_segment_size: 88
    .language:       OpenCL C
    .language_version:
      - 2
      - 0
    .max_flat_workgroup_size: 168
    .name:           fft_rtc_fwd_len336_factors_3_7_8_2_wgs_168_tpt_42_dim2_dp_ip_CI_sbcc_twdbase8_2step_dirReg
    .private_segment_fixed_size: 0
    .sgpr_count:     44
    .sgpr_spill_count: 0
    .symbol:         fft_rtc_fwd_len336_factors_3_7_8_2_wgs_168_tpt_42_dim2_dp_ip_CI_sbcc_twdbase8_2step_dirReg.kd
    .uniform_work_group_size: 1
    .uses_dynamic_stack: false
    .vgpr_count:     120
    .vgpr_spill_count: 0
    .wavefront_size: 64
amdhsa.target:   amdgcn-amd-amdhsa--gfx906
amdhsa.version:
  - 1
  - 2
...

	.end_amdgpu_metadata
